;; amdgpu-corpus repo=ROCm/rocFFT kind=compiled arch=gfx906 opt=O3
	.text
	.amdgcn_target "amdgcn-amd-amdhsa--gfx906"
	.amdhsa_code_object_version 6
	.protected	fft_rtc_fwd_len1152_factors_4_3_8_3_4_wgs_144_tpt_144_halfLds_half_ip_CI_unitstride_sbrr_C2R_dirReg ; -- Begin function fft_rtc_fwd_len1152_factors_4_3_8_3_4_wgs_144_tpt_144_halfLds_half_ip_CI_unitstride_sbrr_C2R_dirReg
	.globl	fft_rtc_fwd_len1152_factors_4_3_8_3_4_wgs_144_tpt_144_halfLds_half_ip_CI_unitstride_sbrr_C2R_dirReg
	.p2align	8
	.type	fft_rtc_fwd_len1152_factors_4_3_8_3_4_wgs_144_tpt_144_halfLds_half_ip_CI_unitstride_sbrr_C2R_dirReg,@function
fft_rtc_fwd_len1152_factors_4_3_8_3_4_wgs_144_tpt_144_halfLds_half_ip_CI_unitstride_sbrr_C2R_dirReg: ; @fft_rtc_fwd_len1152_factors_4_3_8_3_4_wgs_144_tpt_144_halfLds_half_ip_CI_unitstride_sbrr_C2R_dirReg
; %bb.0:
	s_load_dwordx2 s[12:13], s[4:5], 0x50
	s_load_dwordx4 s[8:11], s[4:5], 0x0
	s_load_dwordx2 s[2:3], s[4:5], 0x18
	v_mul_u32_u24_e32 v1, 0x1c8, v0
	v_add_u32_sdwa v5, s6, v1 dst_sel:DWORD dst_unused:UNUSED_PAD src0_sel:DWORD src1_sel:WORD_1
	v_mov_b32_e32 v3, 0
	s_waitcnt lgkmcnt(0)
	v_cmp_lt_u64_e64 s[0:1], s[10:11], 2
	v_mov_b32_e32 v1, 0
	v_mov_b32_e32 v6, v3
	s_and_b64 vcc, exec, s[0:1]
	v_mov_b32_e32 v2, 0
	s_cbranch_vccnz .LBB0_8
; %bb.1:
	s_load_dwordx2 s[0:1], s[4:5], 0x10
	s_add_u32 s6, s2, 8
	s_addc_u32 s7, s3, 0
	v_mov_b32_e32 v1, 0
	v_mov_b32_e32 v2, 0
	s_waitcnt lgkmcnt(0)
	s_add_u32 s14, s0, 8
	s_addc_u32 s15, s1, 0
	s_mov_b64 s[16:17], 1
.LBB0_2:                                ; =>This Inner Loop Header: Depth=1
	s_load_dwordx2 s[18:19], s[14:15], 0x0
                                        ; implicit-def: $vgpr7_vgpr8
	s_waitcnt lgkmcnt(0)
	v_or_b32_e32 v4, s19, v6
	v_cmp_ne_u64_e32 vcc, 0, v[3:4]
	s_and_saveexec_b64 s[0:1], vcc
	s_xor_b64 s[20:21], exec, s[0:1]
	s_cbranch_execz .LBB0_4
; %bb.3:                                ;   in Loop: Header=BB0_2 Depth=1
	v_cvt_f32_u32_e32 v4, s18
	v_cvt_f32_u32_e32 v7, s19
	s_sub_u32 s0, 0, s18
	s_subb_u32 s1, 0, s19
	v_mac_f32_e32 v4, 0x4f800000, v7
	v_rcp_f32_e32 v4, v4
	v_mul_f32_e32 v4, 0x5f7ffffc, v4
	v_mul_f32_e32 v7, 0x2f800000, v4
	v_trunc_f32_e32 v7, v7
	v_mac_f32_e32 v4, 0xcf800000, v7
	v_cvt_u32_f32_e32 v7, v7
	v_cvt_u32_f32_e32 v4, v4
	v_mul_lo_u32 v8, s0, v7
	v_mul_hi_u32 v9, s0, v4
	v_mul_lo_u32 v11, s1, v4
	v_mul_lo_u32 v10, s0, v4
	v_add_u32_e32 v8, v9, v8
	v_add_u32_e32 v8, v8, v11
	v_mul_hi_u32 v9, v4, v10
	v_mul_lo_u32 v11, v4, v8
	v_mul_hi_u32 v13, v4, v8
	v_mul_hi_u32 v12, v7, v10
	v_mul_lo_u32 v10, v7, v10
	v_mul_hi_u32 v14, v7, v8
	v_add_co_u32_e32 v9, vcc, v9, v11
	v_addc_co_u32_e32 v11, vcc, 0, v13, vcc
	v_mul_lo_u32 v8, v7, v8
	v_add_co_u32_e32 v9, vcc, v9, v10
	v_addc_co_u32_e32 v9, vcc, v11, v12, vcc
	v_addc_co_u32_e32 v10, vcc, 0, v14, vcc
	v_add_co_u32_e32 v8, vcc, v9, v8
	v_addc_co_u32_e32 v9, vcc, 0, v10, vcc
	v_add_co_u32_e32 v4, vcc, v4, v8
	v_addc_co_u32_e32 v7, vcc, v7, v9, vcc
	v_mul_lo_u32 v8, s0, v7
	v_mul_hi_u32 v9, s0, v4
	v_mul_lo_u32 v10, s1, v4
	v_mul_lo_u32 v11, s0, v4
	v_add_u32_e32 v8, v9, v8
	v_add_u32_e32 v8, v8, v10
	v_mul_lo_u32 v12, v4, v8
	v_mul_hi_u32 v13, v4, v11
	v_mul_hi_u32 v14, v4, v8
	;; [unrolled: 1-line block ×3, first 2 shown]
	v_mul_lo_u32 v11, v7, v11
	v_mul_hi_u32 v9, v7, v8
	v_add_co_u32_e32 v12, vcc, v13, v12
	v_addc_co_u32_e32 v13, vcc, 0, v14, vcc
	v_mul_lo_u32 v8, v7, v8
	v_add_co_u32_e32 v11, vcc, v12, v11
	v_addc_co_u32_e32 v10, vcc, v13, v10, vcc
	v_addc_co_u32_e32 v9, vcc, 0, v9, vcc
	v_add_co_u32_e32 v8, vcc, v10, v8
	v_addc_co_u32_e32 v9, vcc, 0, v9, vcc
	v_add_co_u32_e32 v4, vcc, v4, v8
	v_addc_co_u32_e32 v9, vcc, v7, v9, vcc
	v_mad_u64_u32 v[7:8], s[0:1], v5, v9, 0
	v_mul_hi_u32 v10, v5, v4
	v_add_co_u32_e32 v11, vcc, v10, v7
	v_addc_co_u32_e32 v12, vcc, 0, v8, vcc
	v_mad_u64_u32 v[7:8], s[0:1], v6, v4, 0
	v_mad_u64_u32 v[9:10], s[0:1], v6, v9, 0
	v_add_co_u32_e32 v4, vcc, v11, v7
	v_addc_co_u32_e32 v4, vcc, v12, v8, vcc
	v_addc_co_u32_e32 v7, vcc, 0, v10, vcc
	v_add_co_u32_e32 v4, vcc, v4, v9
	v_addc_co_u32_e32 v9, vcc, 0, v7, vcc
	v_mul_lo_u32 v10, s19, v4
	v_mul_lo_u32 v11, s18, v9
	v_mad_u64_u32 v[7:8], s[0:1], s18, v4, 0
	v_add3_u32 v8, v8, v11, v10
	v_sub_u32_e32 v10, v6, v8
	v_mov_b32_e32 v11, s19
	v_sub_co_u32_e32 v7, vcc, v5, v7
	v_subb_co_u32_e64 v10, s[0:1], v10, v11, vcc
	v_subrev_co_u32_e64 v11, s[0:1], s18, v7
	v_subbrev_co_u32_e64 v10, s[0:1], 0, v10, s[0:1]
	v_cmp_le_u32_e64 s[0:1], s19, v10
	v_cndmask_b32_e64 v12, 0, -1, s[0:1]
	v_cmp_le_u32_e64 s[0:1], s18, v11
	v_cndmask_b32_e64 v11, 0, -1, s[0:1]
	v_cmp_eq_u32_e64 s[0:1], s19, v10
	v_cndmask_b32_e64 v10, v12, v11, s[0:1]
	v_add_co_u32_e64 v11, s[0:1], 2, v4
	v_addc_co_u32_e64 v12, s[0:1], 0, v9, s[0:1]
	v_add_co_u32_e64 v13, s[0:1], 1, v4
	v_addc_co_u32_e64 v14, s[0:1], 0, v9, s[0:1]
	v_subb_co_u32_e32 v8, vcc, v6, v8, vcc
	v_cmp_ne_u32_e64 s[0:1], 0, v10
	v_cmp_le_u32_e32 vcc, s19, v8
	v_cndmask_b32_e64 v10, v14, v12, s[0:1]
	v_cndmask_b32_e64 v12, 0, -1, vcc
	v_cmp_le_u32_e32 vcc, s18, v7
	v_cndmask_b32_e64 v7, 0, -1, vcc
	v_cmp_eq_u32_e32 vcc, s19, v8
	v_cndmask_b32_e32 v7, v12, v7, vcc
	v_cmp_ne_u32_e32 vcc, 0, v7
	v_cndmask_b32_e64 v7, v13, v11, s[0:1]
	v_cndmask_b32_e32 v8, v9, v10, vcc
	v_cndmask_b32_e32 v7, v4, v7, vcc
.LBB0_4:                                ;   in Loop: Header=BB0_2 Depth=1
	s_andn2_saveexec_b64 s[0:1], s[20:21]
	s_cbranch_execz .LBB0_6
; %bb.5:                                ;   in Loop: Header=BB0_2 Depth=1
	v_cvt_f32_u32_e32 v4, s18
	s_sub_i32 s20, 0, s18
	v_rcp_iflag_f32_e32 v4, v4
	v_mul_f32_e32 v4, 0x4f7ffffe, v4
	v_cvt_u32_f32_e32 v4, v4
	v_mul_lo_u32 v7, s20, v4
	v_mul_hi_u32 v7, v4, v7
	v_add_u32_e32 v4, v4, v7
	v_mul_hi_u32 v4, v5, v4
	v_mul_lo_u32 v7, v4, s18
	v_add_u32_e32 v8, 1, v4
	v_sub_u32_e32 v7, v5, v7
	v_subrev_u32_e32 v9, s18, v7
	v_cmp_le_u32_e32 vcc, s18, v7
	v_cndmask_b32_e32 v7, v7, v9, vcc
	v_cndmask_b32_e32 v4, v4, v8, vcc
	v_add_u32_e32 v8, 1, v4
	v_cmp_le_u32_e32 vcc, s18, v7
	v_cndmask_b32_e32 v7, v4, v8, vcc
	v_mov_b32_e32 v8, v3
.LBB0_6:                                ;   in Loop: Header=BB0_2 Depth=1
	s_or_b64 exec, exec, s[0:1]
	v_mul_lo_u32 v4, v8, s18
	v_mul_lo_u32 v11, v7, s19
	v_mad_u64_u32 v[9:10], s[0:1], v7, s18, 0
	s_load_dwordx2 s[0:1], s[6:7], 0x0
	s_add_u32 s16, s16, 1
	v_add3_u32 v4, v10, v11, v4
	v_sub_co_u32_e32 v5, vcc, v5, v9
	v_subb_co_u32_e32 v4, vcc, v6, v4, vcc
	s_waitcnt lgkmcnt(0)
	v_mul_lo_u32 v4, s0, v4
	v_mul_lo_u32 v6, s1, v5
	v_mad_u64_u32 v[1:2], s[0:1], s0, v5, v[1:2]
	s_addc_u32 s17, s17, 0
	s_add_u32 s6, s6, 8
	v_add3_u32 v2, v6, v2, v4
	v_mov_b32_e32 v4, s10
	v_mov_b32_e32 v5, s11
	s_addc_u32 s7, s7, 0
	v_cmp_ge_u64_e32 vcc, s[16:17], v[4:5]
	s_add_u32 s14, s14, 8
	s_addc_u32 s15, s15, 0
	s_cbranch_vccnz .LBB0_9
; %bb.7:                                ;   in Loop: Header=BB0_2 Depth=1
	v_mov_b32_e32 v5, v7
	v_mov_b32_e32 v6, v8
	s_branch .LBB0_2
.LBB0_8:
	v_mov_b32_e32 v8, v6
	v_mov_b32_e32 v7, v5
.LBB0_9:
	s_lshl_b64 s[0:1], s[10:11], 3
	s_add_u32 s0, s2, s0
	s_addc_u32 s1, s3, s1
	s_load_dwordx2 s[2:3], s[0:1], 0x0
	s_load_dwordx2 s[6:7], s[4:5], 0x20
	s_waitcnt lgkmcnt(0)
	v_mad_u64_u32 v[1:2], s[0:1], s2, v7, v[1:2]
	v_mul_lo_u32 v3, s2, v8
	v_mul_lo_u32 v4, s3, v7
	s_mov_b32 s0, 0x1c71c72
	v_mul_hi_u32 v5, v0, s0
	v_cmp_gt_u64_e64 s[0:1], s[6:7], v[7:8]
	v_add3_u32 v2, v4, v2, v3
	v_lshlrev_b64 v[2:3], 2, v[1:2]
	v_mul_u32_u24_e32 v4, 0x90, v5
	v_sub_u32_e32 v0, v0, v4
	s_and_saveexec_b64 s[2:3], s[0:1]
	s_cbranch_execz .LBB0_13
; %bb.10:
	v_mov_b32_e32 v1, 0
	v_mov_b32_e32 v4, s13
	v_add_co_u32_e32 v5, vcc, s12, v2
	v_lshlrev_b64 v[6:7], 2, v[0:1]
	v_addc_co_u32_e32 v4, vcc, v4, v3, vcc
	v_add_co_u32_e32 v6, vcc, v5, v6
	v_addc_co_u32_e32 v7, vcc, v4, v7, vcc
	global_load_dword v8, v[6:7], off
	global_load_dword v9, v[6:7], off offset:576
	global_load_dword v10, v[6:7], off offset:1152
	global_load_dword v11, v[6:7], off offset:1728
	global_load_dword v12, v[6:7], off offset:2304
	global_load_dword v13, v[6:7], off offset:2880
	global_load_dword v14, v[6:7], off offset:3456
	global_load_dword v15, v[6:7], off offset:4032
	s_movk_i32 s4, 0x8f
	v_lshl_add_u32 v6, v0, 2, 0
	v_cmp_eq_u32_e32 vcc, s4, v0
	v_add_u32_e32 v7, 0x400, v6
	v_add_u32_e32 v16, 0x800, v6
	;; [unrolled: 1-line block ×3, first 2 shown]
	s_waitcnt vmcnt(6)
	ds_write2_b32 v6, v8, v9 offset1:144
	s_waitcnt vmcnt(4)
	ds_write2_b32 v7, v10, v11 offset0:32 offset1:176
	s_waitcnt vmcnt(2)
	ds_write2_b32 v16, v12, v13 offset0:64 offset1:208
	;; [unrolled: 2-line block ×3, first 2 shown]
	s_and_saveexec_b64 s[4:5], vcc
	s_cbranch_execz .LBB0_12
; %bb.11:
	v_add_co_u32_e32 v5, vcc, 0x1000, v5
	v_addc_co_u32_e32 v6, vcc, 0, v4, vcc
	global_load_dword v0, v[5:6], off offset:512
	s_waitcnt vmcnt(0)
	ds_write_b32 v1, v0 offset:4608
	v_mov_b32_e32 v0, 0x8f
.LBB0_12:
	s_or_b64 exec, exec, s[4:5]
.LBB0_13:
	s_or_b64 exec, exec, s[2:3]
	v_lshlrev_b32_e32 v1, 2, v0
	v_add_u32_e32 v12, 0, v1
	s_waitcnt lgkmcnt(0)
	s_barrier
	v_sub_u32_e32 v6, 0, v1
	ds_read_u16 v1, v12
	ds_read_u16 v4, v6 offset:4608
	s_add_u32 s4, s8, 0x11f0
	s_addc_u32 s5, s9, 0
	v_cmp_ne_u32_e32 vcc, 0, v0
	s_waitcnt lgkmcnt(0)
	v_add_f16_e32 v8, v4, v1
	v_sub_f16_e32 v7, v1, v4
                                        ; implicit-def: $vgpr4_vgpr5
	s_and_saveexec_b64 s[2:3], vcc
	s_xor_b64 s[2:3], exec, s[2:3]
	s_cbranch_execz .LBB0_15
; %bb.14:
	v_mov_b32_e32 v1, 0
	v_lshlrev_b64 v[4:5], 2, v[0:1]
	v_mov_b32_e32 v9, s5
	v_add_co_u32_e32 v4, vcc, s4, v4
	v_addc_co_u32_e32 v5, vcc, v9, v5, vcc
	global_load_dword v4, v[4:5], off
	ds_read_u16 v5, v6 offset:4610
	ds_read_u16 v9, v12 offset:2
	s_waitcnt lgkmcnt(0)
	v_add_f16_e32 v10, v5, v9
	v_sub_f16_e32 v5, v9, v5
	s_waitcnt vmcnt(0)
	v_lshrrev_b32_e32 v9, 16, v4
	v_fma_f16 v11, v7, v9, v8
	v_fma_f16 v13, v10, v9, v5
	v_fma_f16 v8, -v7, v9, v8
	v_fma_f16 v5, v10, v9, -v5
	v_fma_f16 v9, -v4, v10, v11
	v_fma_f16 v11, v7, v4, v13
	v_fma_f16 v8, v4, v10, v8
	;; [unrolled: 1-line block ×3, first 2 shown]
	v_pack_b32_f16 v5, v9, v11
	v_pack_b32_f16 v4, v8, v4
	ds_write_b32 v12, v5
	ds_write_b32 v6, v4 offset:4608
	v_mov_b32_e32 v5, v1
	v_mov_b32_e32 v4, v0
                                        ; implicit-def: $vgpr8
                                        ; implicit-def: $vgpr7
.LBB0_15:
	s_andn2_saveexec_b64 s[2:3], s[2:3]
	s_cbranch_execz .LBB0_17
; %bb.16:
	v_pack_b32_f16 v1, v8, v7
	ds_write_b32 v12, v1
	v_mov_b32_e32 v1, 0
	ds_read_b32 v4, v1 offset:2304
	s_mov_b32 s6, 0xc0004000
	s_waitcnt lgkmcnt(0)
	v_pk_mul_f16 v7, v4, s6
	v_mov_b32_e32 v4, 0
	v_mov_b32_e32 v5, 0
	ds_write_b32 v1, v7 offset:2304
.LBB0_17:
	s_or_b64 exec, exec, s[2:3]
	v_lshlrev_b64 v[4:5], 2, v[4:5]
	v_mov_b32_e32 v1, s5
	v_add_co_u32_e32 v4, vcc, s4, v4
	v_addc_co_u32_e32 v5, vcc, v1, v5, vcc
	global_load_dword v1, v[4:5], off offset:576
	global_load_dword v7, v[4:5], off offset:1152
	;; [unrolled: 1-line block ×3, first 2 shown]
	ds_read_b32 v4, v12 offset:576
	ds_read_b32 v5, v6 offset:4032
	s_movk_i32 s2, 0x60
	v_cmp_gt_u32_e32 vcc, s2, v0
	s_waitcnt lgkmcnt(0)
	v_add_f16_e32 v9, v4, v5
	v_add_f16_sdwa v10, v5, v4 dst_sel:DWORD dst_unused:UNUSED_PAD src0_sel:WORD_1 src1_sel:WORD_1
	v_sub_f16_e32 v11, v4, v5
	v_sub_f16_sdwa v4, v4, v5 dst_sel:DWORD dst_unused:UNUSED_PAD src0_sel:WORD_1 src1_sel:WORD_1
	s_waitcnt vmcnt(2)
	v_lshrrev_b32_e32 v5, 16, v1
	v_fma_f16 v13, v11, v5, v9
	v_fma_f16 v14, v10, v5, v4
	v_fma_f16 v9, -v11, v5, v9
	v_fma_f16 v4, v10, v5, -v4
	v_fma_f16 v5, -v1, v10, v13
	v_fma_f16 v13, v11, v1, v14
	v_fma_f16 v9, v1, v10, v9
	;; [unrolled: 1-line block ×3, first 2 shown]
	v_pack_b32_f16 v4, v5, v13
	v_pack_b32_f16 v1, v9, v1
	ds_write_b32 v12, v4 offset:576
	ds_write_b32 v6, v1 offset:4032
	ds_read_b32 v4, v12 offset:1152
	ds_read_b32 v5, v6 offset:3456
	s_waitcnt vmcnt(1)
	v_lshrrev_b32_e32 v11, 16, v7
	v_add_u32_e32 v9, 0x400, v12
	v_add_u32_e32 v10, 0x800, v12
	;; [unrolled: 1-line block ×3, first 2 shown]
	s_waitcnt lgkmcnt(0)
	v_add_f16_e32 v13, v4, v5
	v_add_f16_sdwa v14, v5, v4 dst_sel:DWORD dst_unused:UNUSED_PAD src0_sel:WORD_1 src1_sel:WORD_1
	v_sub_f16_e32 v15, v4, v5
	v_sub_f16_sdwa v4, v4, v5 dst_sel:DWORD dst_unused:UNUSED_PAD src0_sel:WORD_1 src1_sel:WORD_1
	v_fma_f16 v5, v15, v11, v13
	v_fma_f16 v16, v14, v11, v4
	v_fma_f16 v13, -v15, v11, v13
	v_fma_f16 v4, v14, v11, -v4
	v_fma_f16 v5, -v7, v14, v5
	v_fma_f16 v11, v15, v7, v16
	v_fma_f16 v13, v7, v14, v13
	v_fma_f16 v4, v15, v7, v4
	v_pack_b32_f16 v5, v5, v11
	v_pack_b32_f16 v4, v13, v4
	ds_write_b32 v12, v5 offset:1152
	ds_write_b32 v6, v4 offset:3456
	ds_read_b32 v4, v12 offset:1728
	ds_read_b32 v5, v6 offset:2880
	s_waitcnt vmcnt(0)
	v_lshrrev_b32_e32 v7, 16, v8
	v_add_u32_e32 v13, 0xc00, v12
	v_mad_u32_u24 v14, v0, 12, v12
	v_lshl_add_u32 v16, v1, 4, 0
	s_waitcnt lgkmcnt(0)
	v_add_f16_e32 v11, v4, v5
	v_add_f16_sdwa v15, v5, v4 dst_sel:DWORD dst_unused:UNUSED_PAD src0_sel:WORD_1 src1_sel:WORD_1
	v_sub_f16_e32 v17, v4, v5
	v_sub_f16_sdwa v4, v4, v5 dst_sel:DWORD dst_unused:UNUSED_PAD src0_sel:WORD_1 src1_sel:WORD_1
	v_fma_f16 v5, v17, v7, v11
	v_fma_f16 v18, v15, v7, v4
	v_fma_f16 v11, -v17, v7, v11
	v_fma_f16 v4, v15, v7, -v4
	v_fma_f16 v5, -v8, v15, v5
	v_fma_f16 v7, v17, v8, v18
	v_fma_f16 v11, v8, v15, v11
	;; [unrolled: 1-line block ×3, first 2 shown]
	v_pack_b32_f16 v5, v5, v7
	v_pack_b32_f16 v4, v11, v4
	ds_write_b32 v12, v5 offset:1728
	ds_write_b32 v6, v4 offset:2880
	s_waitcnt lgkmcnt(0)
	s_barrier
	s_barrier
	ds_read2_b32 v[4:5], v12 offset1:144
	ds_read2_b32 v[6:7], v9 offset0:32 offset1:176
	ds_read2_b32 v[8:9], v10 offset0:64 offset1:208
	;; [unrolled: 1-line block ×3, first 2 shown]
	s_waitcnt lgkmcnt(0)
	s_barrier
	v_pk_add_f16 v9, v5, v9 neg_lo:[0,1] neg_hi:[0,1]
	v_pk_add_f16 v11, v7, v11 neg_lo:[0,1] neg_hi:[0,1]
	;; [unrolled: 1-line block ×4, first 2 shown]
	v_pk_fma_f16 v17, v5, 2.0, v9 op_sel_hi:[1,0,1] neg_lo:[0,0,1] neg_hi:[0,0,1]
	v_pk_fma_f16 v5, v7, 2.0, v11 op_sel_hi:[1,0,1] neg_lo:[0,0,1] neg_hi:[0,0,1]
	v_alignbit_b32 v7, s0, v11, 16
	v_alignbit_b32 v15, s0, v9, 16
	v_pk_fma_f16 v19, v4, 2.0, v8 op_sel_hi:[1,0,1] neg_lo:[0,0,1] neg_hi:[0,0,1]
	v_pk_fma_f16 v6, v6, 2.0, v10 op_sel_hi:[1,0,1] neg_lo:[0,0,1] neg_hi:[0,0,1]
	v_alignbit_b32 v20, s0, v10, 16
	v_alignbit_b32 v22, s0, v8, 16
	v_lshrrev_b32_e32 v18, 16, v9
	v_lshrrev_b32_e32 v21, 16, v8
	v_pk_add_f16 v4, v17, v5 neg_lo:[0,1] neg_hi:[0,1]
	v_pk_add_f16 v5, v9, v7 neg_lo:[0,1] neg_hi:[0,1]
	v_pk_add_f16 v15, v15, v11
	v_pk_add_f16 v6, v19, v6 neg_lo:[0,1] neg_hi:[0,1]
	v_pk_add_f16 v7, v8, v20 neg_lo:[0,1] neg_hi:[0,1]
	v_pk_add_f16 v10, v22, v10
	v_fma_f16 v11, v18, 2.0, -v15
	v_pk_fma_f16 v18, v19, 2.0, v6 op_sel_hi:[1,0,1] neg_lo:[0,0,1] neg_hi:[0,0,1]
	v_fma_f16 v8, v8, 2.0, -v7
	v_fma_f16 v19, v21, 2.0, -v10
	;; [unrolled: 1-line block ×3, first 2 shown]
	v_pack_b32_f16 v7, v7, v10
	v_pack_b32_f16 v8, v8, v19
	v_pk_fma_f16 v10, v17, 2.0, v4 op_sel_hi:[1,0,1] neg_lo:[0,0,1] neg_hi:[0,0,1]
	v_pack_b32_f16 v17, v5, v15
	ds_write2_b32 v14, v6, v7 offset0:2 offset1:3
	v_pack_b32_f16 v6, v9, v11
	ds_write2_b32 v14, v18, v8 offset1:1
	ds_write2_b32 v16, v10, v6 offset1:1
	ds_write2_b32 v16, v4, v17 offset0:2 offset1:3
	v_add_u32_e32 v8, 0x600, v12
	s_waitcnt lgkmcnt(0)
	s_barrier
	ds_read2_b32 v[6:7], v12 offset1:144
	ds_read2_b32 v[10:11], v8 offset1:144
	;; [unrolled: 1-line block ×3, first 2 shown]
	ds_read_u16 v14, v12 offset:578
                                        ; implicit-def: $vgpr18
                                        ; implicit-def: $vgpr17
	s_and_saveexec_b64 s[2:3], vcc
	s_cbranch_execz .LBB0_19
; %bb.18:
	v_add_u32_e32 v4, 0x80, v12
	ds_read2st64_b32 v[4:5], v4 offset0:4 offset1:10
	ds_read_b32 v17, v12 offset:4224
	s_waitcnt lgkmcnt(1)
	v_lshrrev_b32_e32 v15, 16, v5
	s_waitcnt lgkmcnt(0)
	v_lshrrev_b32_e32 v18, 16, v17
.LBB0_19:
	s_or_b64 exec, exec, s[2:3]
	v_and_b32_e32 v16, 3, v0
	v_lshlrev_b32_e32 v13, 3, v16
	global_load_dwordx2 v[20:21], v13, s[8:9]
	s_waitcnt lgkmcnt(2)
	v_lshrrev_b32_e32 v22, 16, v10
	v_lshrrev_b32_e32 v23, 16, v11
	s_waitcnt lgkmcnt(1)
	v_lshrrev_b32_e32 v24, 16, v8
	v_lshrrev_b32_e32 v25, 16, v9
	;; [unrolled: 1-line block ×4, first 2 shown]
	s_movk_i32 s2, 0x3aee
	s_mov_b32 s3, 0xbaee
	v_lshrrev_b32_e32 v28, 2, v1
	v_mul_u32_u24_e32 v27, 12, v27
	v_lshrrev_b32_e32 v19, 16, v4
	v_mul_u32_u24_e32 v28, 12, v28
	v_or_b32_e32 v27, v27, v16
	v_or_b32_e32 v28, v28, v16
	v_lshl_add_u32 v27, v27, 2, 0
	s_waitcnt vmcnt(0) lgkmcnt(0)
	s_barrier
	v_lshl_add_u32 v28, v28, 2, 0
	v_add_u32_e32 v13, 0x120, v0
	v_mul_f16_sdwa v29, v20, v22 dst_sel:DWORD dst_unused:UNUSED_PAD src0_sel:WORD_1 src1_sel:DWORD
	v_mul_f16_sdwa v30, v20, v23 dst_sel:DWORD dst_unused:UNUSED_PAD src0_sel:WORD_1 src1_sel:DWORD
	;; [unrolled: 1-line block ×5, first 2 shown]
	v_fma_f16 v29, v20, v10, -v29
	v_fma_f16 v11, v20, v11, -v30
	v_mul_f16_sdwa v10, v21, v25 dst_sel:DWORD dst_unused:UNUSED_PAD src0_sel:WORD_1 src1_sel:DWORD
	v_mul_f16_sdwa v30, v21, v8 dst_sel:DWORD dst_unused:UNUSED_PAD src0_sel:WORD_1 src1_sel:DWORD
	v_fma_f16 v33, v21, v8, -v33
	v_fma_f16 v34, v21, v9, -v10
	v_mul_f16_sdwa v8, v21, v9 dst_sel:DWORD dst_unused:UNUSED_PAD src0_sel:WORD_1 src1_sel:DWORD
	v_mul_f16_sdwa v9, v18, v21 dst_sel:DWORD dst_unused:UNUSED_PAD src0_sel:DWORD src1_sel:WORD_1
	v_fma_f16 v22, v20, v22, v31
	v_mul_f16_sdwa v10, v17, v21 dst_sel:DWORD dst_unused:UNUSED_PAD src0_sel:DWORD src1_sel:WORD_1
	v_fma_f16 v24, v21, v24, v30
	v_mul_f16_sdwa v30, v5, v20 dst_sel:DWORD dst_unused:UNUSED_PAD src0_sel:DWORD src1_sel:WORD_1
	v_mul_f16_sdwa v31, v15, v20 dst_sel:DWORD dst_unused:UNUSED_PAD src0_sel:DWORD src1_sel:WORD_1
	v_fma_f16 v23, v20, v23, v32
	v_fma_f16 v25, v21, v25, v8
	v_fma_f16 v8, v17, v21, -v9
	v_fma_f16 v9, v18, v21, v10
	v_fma_f16 v10, v15, v20, v30
	v_fma_f16 v5, v5, v20, -v31
	v_add_f16_e32 v15, v29, v6
	v_add_f16_e32 v17, v29, v33
	v_sub_f16_e32 v18, v29, v33
	v_sub_f16_e32 v20, v22, v24
	v_add_f16_e32 v21, v22, v26
	v_add_f16_e32 v22, v22, v24
	;; [unrolled: 1-line block ×4, first 2 shown]
	v_fma_f16 v17, v17, -0.5, v6
	v_fma_f16 v29, v29, -0.5, v7
	v_sub_f16_e32 v31, v23, v25
	v_sub_f16_e32 v32, v11, v34
	v_add_f16_e32 v7, v14, v23
	v_add_f16_e32 v11, v23, v25
	;; [unrolled: 1-line block ×5, first 2 shown]
	v_fma_f16 v22, v22, -0.5, v26
	v_add_f16_e32 v24, v10, v9
	v_add_f16_e32 v25, v7, v25
	v_fma_f16 v14, v11, -0.5, v14
	v_fma_f16 v7, v23, -0.5, v4
	v_pack_b32_f16 v15, v15, v21
	v_fma_f16 v21, v20, s2, v17
	v_fma_f16 v23, v18, s3, v22
	v_fma_f16 v17, v20, s3, v17
	v_fma_f16 v18, v18, s2, v22
	v_add_f16_e32 v26, v30, v34
	v_fma_f16 v11, v24, -0.5, v19
	v_fma_f16 v20, v31, s2, v29
	v_fma_f16 v24, v32, s3, v14
	v_pack_b32_f16 v21, v21, v23
	v_pack_b32_f16 v17, v17, v18
	v_sub_f16_e32 v6, v10, v9
	v_fma_f16 v22, v31, s3, v29
	v_fma_f16 v29, v32, s2, v14
	v_pack_b32_f16 v25, v26, v25
	v_pack_b32_f16 v18, v20, v24
	ds_write2_b32 v27, v15, v21 offset1:4
	ds_write_b32 v27, v17 offset:32
	ds_write2_b32 v28, v25, v18 offset1:4
	v_sub_f16_e32 v17, v5, v8
	v_fma_f16 v14, v6, s3, v7
	v_pack_b32_f16 v18, v22, v29
	v_fma_f16 v15, v17, s2, v11
	ds_write_b32 v28, v18 offset:32
	s_and_saveexec_b64 s[2:3], vcc
	s_cbranch_execz .LBB0_21
; %bb.20:
	v_mul_f16_e32 v6, 0x3aee, v6
	v_add_f16_e32 v4, v4, v5
	v_lshrrev_b32_e32 v5, 2, v13
	v_mul_f16_e32 v17, 0x3aee, v17
	v_add_f16_e32 v6, v6, v7
	v_add_f16_e32 v7, v19, v10
	v_mul_u32_u24_e32 v5, 12, v5
	v_sub_f16_e32 v11, v11, v17
	v_add_f16_e32 v7, v7, v9
	v_add_f16_e32 v4, v4, v8
	v_or_b32_e32 v5, v5, v16
	v_lshl_add_u32 v5, v5, 2, 0
	v_pack_b32_f16 v4, v4, v7
	v_pack_b32_f16 v6, v6, v11
	s_mov_b32 s4, 0x5040100
	ds_write2_b32 v5, v4, v6 offset1:4
	v_perm_b32 v4, v15, v14, s4
	ds_write_b32 v5, v4 offset:32
.LBB0_21:
	s_or_b64 exec, exec, s[2:3]
	s_movk_i32 s2, 0xab
	v_mul_lo_u16_sdwa v4, v0, s2 dst_sel:DWORD dst_unused:UNUSED_PAD src0_sel:BYTE_0 src1_sel:DWORD
	v_lshrrev_b16_e32 v11, 11, v4
	v_mul_lo_u16_e32 v4, 12, v11
	v_sub_u16_e32 v24, v0, v4
	v_mov_b32_e32 v4, 7
	v_mul_u32_u24_sdwa v4, v24, v4 dst_sel:DWORD dst_unused:UNUSED_PAD src0_sel:BYTE_0 src1_sel:DWORD
	v_lshlrev_b32_e32 v16, 2, v4
	s_waitcnt lgkmcnt(0)
	s_barrier
	global_load_dwordx4 v[4:7], v16, s[8:9] offset:32
	global_load_dwordx3 v[8:10], v16, s[8:9] offset:48
	v_add_u32_e32 v18, 0x400, v12
	v_add_u32_e32 v20, 0x800, v12
	ds_read2_b32 v[16:17], v12 offset1:144
	ds_read_u16 v25, v12 offset:3458
	v_add_u32_e32 v26, 0xc00, v12
	ds_read2_b32 v[18:19], v18 offset0:32 offset1:176
	ds_read2_b32 v[20:21], v20 offset0:64 offset1:208
	;; [unrolled: 1-line block ×3, first 2 shown]
	s_mov_b32 s2, 0xb9a8
	s_waitcnt lgkmcnt(4)
	v_lshrrev_b32_e32 v27, 16, v17
	s_waitcnt lgkmcnt(2)
	v_lshrrev_b32_e32 v29, 16, v18
	v_lshrrev_b32_e32 v30, 16, v19
	s_waitcnt lgkmcnt(1)
	v_lshrrev_b32_e32 v31, 16, v20
	s_waitcnt lgkmcnt(0)
	v_lshrrev_b32_e32 v32, 16, v23
	v_lshrrev_b32_e32 v33, 16, v21
	;; [unrolled: 1-line block ×3, first 2 shown]
	s_movk_i32 s3, 0x39a8
	v_mul_u32_u24_e32 v11, 0x60, v11
	v_or_b32_sdwa v11, v11, v24 dst_sel:DWORD dst_unused:UNUSED_PAD src0_sel:DWORD src1_sel:BYTE_0
	v_lshl_add_u32 v11, v11, 2, 0
	s_waitcnt vmcnt(0)
	s_barrier
	v_mul_f16_sdwa v34, v5, v29 dst_sel:DWORD dst_unused:UNUSED_PAD src0_sel:WORD_1 src1_sel:DWORD
	v_mul_f16_sdwa v36, v6, v30 dst_sel:DWORD dst_unused:UNUSED_PAD src0_sel:WORD_1 src1_sel:DWORD
	;; [unrolled: 1-line block ×3, first 2 shown]
	v_fma_f16 v18, v5, v18, -v34
	v_fma_f16 v34, v6, v19, -v36
	v_mul_f16_sdwa v19, v6, v19 dst_sel:DWORD dst_unused:UNUSED_PAD src0_sel:WORD_1 src1_sel:DWORD
	v_fma_f16 v5, v5, v29, v35
	v_mul_f16_sdwa v35, v7, v20 dst_sel:DWORD dst_unused:UNUSED_PAD src0_sel:WORD_1 src1_sel:DWORD
	v_fma_f16 v6, v6, v30, v19
	v_mul_f16_sdwa v19, v7, v31 dst_sel:DWORD dst_unused:UNUSED_PAD src0_sel:WORD_1 src1_sel:DWORD
	v_mul_f16_sdwa v36, v4, v17 dst_sel:DWORD dst_unused:UNUSED_PAD src0_sel:WORD_1 src1_sel:DWORD
	;; [unrolled: 1-line block ×3, first 2 shown]
	v_fma_f16 v30, v7, v31, v35
	v_mul_f16_sdwa v31, v8, v33 dst_sel:DWORD dst_unused:UNUSED_PAD src0_sel:WORD_1 src1_sel:DWORD
	v_fma_f16 v7, v7, v20, -v19
	v_mul_f16_sdwa v19, v25, v9 dst_sel:DWORD dst_unused:UNUSED_PAD src0_sel:DWORD src1_sel:WORD_1
	v_mul_f16_sdwa v20, v32, v10 dst_sel:DWORD dst_unused:UNUSED_PAD src0_sel:DWORD src1_sel:WORD_1
	v_fma_f16 v27, v4, v27, v36
	v_fma_f16 v4, v4, v17, -v29
	v_mul_f16_sdwa v17, v8, v21 dst_sel:DWORD dst_unused:UNUSED_PAD src0_sel:WORD_1 src1_sel:DWORD
	v_fma_f16 v21, v8, v21, -v31
	v_fma_f16 v19, v9, v22, -v19
	;; [unrolled: 1-line block ×3, first 2 shown]
	v_mul_f16_sdwa v29, v9, v22 dst_sel:DWORD dst_unused:UNUSED_PAD src0_sel:WORD_1 src1_sel:DWORD
	v_mul_f16_sdwa v31, v23, v10 dst_sel:DWORD dst_unused:UNUSED_PAD src0_sel:DWORD src1_sel:WORD_1
	v_fma_f16 v8, v8, v33, v17
	v_sub_f16_e32 v7, v16, v7
	v_sub_f16_e32 v19, v18, v19
	;; [unrolled: 1-line block ×4, first 2 shown]
	v_fma_f16 v9, v25, v9, v29
	v_fma_f16 v10, v32, v10, v31
	v_sub_f16_e32 v17, v28, v30
	v_sub_f16_e32 v8, v27, v8
	v_fma_f16 v16, v16, 2.0, -v7
	v_fma_f16 v18, v18, 2.0, -v19
	;; [unrolled: 1-line block ×4, first 2 shown]
	v_sub_f16_e32 v9, v5, v9
	v_sub_f16_e32 v10, v6, v10
	v_add_f16_e32 v19, v17, v19
	v_add_f16_e32 v20, v8, v20
	v_sub_f16_e32 v18, v16, v18
	v_sub_f16_e32 v25, v4, v25
	v_fma_f16 v22, v28, 2.0, -v17
	v_fma_f16 v5, v5, 2.0, -v9
	;; [unrolled: 1-line block ×4, first 2 shown]
	v_sub_f16_e32 v9, v7, v9
	v_sub_f16_e32 v10, v21, v10
	v_fma_f16 v17, v17, 2.0, -v19
	v_fma_f16 v8, v8, 2.0, -v20
	;; [unrolled: 1-line block ×4, first 2 shown]
	v_sub_f16_e32 v5, v22, v5
	v_fma_f16 v7, v7, 2.0, -v9
	v_sub_f16_e32 v6, v23, v6
	v_fma_f16 v21, v21, 2.0, -v10
	v_fma_f16 v28, v8, s2, v17
	v_sub_f16_e32 v29, v16, v4
	v_fma_f16 v22, v22, 2.0, -v5
	v_fma_f16 v23, v23, 2.0, -v6
	v_fma_f16 v27, v21, s2, v7
	v_fma_f16 v30, v16, 2.0, -v29
	v_fma_f16 v21, v21, s3, v28
	v_sub_f16_e32 v4, v18, v6
	v_add_f16_e32 v16, v5, v25
	v_sub_f16_e32 v23, v22, v23
	v_fma_f16 v8, v8, s2, v27
	v_fma_f16 v27, v17, 2.0, -v21
	v_fma_f16 v6, v18, 2.0, -v4
	;; [unrolled: 1-line block ×3, first 2 shown]
	v_fma_f16 v5, v10, s3, v9
	v_fma_f16 v17, v20, s3, v19
	v_fma_f16 v22, v22, 2.0, -v23
	v_fma_f16 v7, v7, 2.0, -v8
	v_fma_f16 v5, v20, s2, v5
	v_fma_f16 v17, v10, s3, v17
	v_fma_f16 v9, v9, 2.0, -v5
	v_fma_f16 v10, v19, 2.0, -v17
	v_pack_b32_f16 v19, v30, v22
	v_pack_b32_f16 v7, v7, v27
	ds_write2_b32 v11, v19, v7 offset1:12
	v_pack_b32_f16 v6, v6, v18
	v_pack_b32_f16 v7, v9, v10
	ds_write2_b32 v11, v6, v7 offset0:24 offset1:36
	v_pack_b32_f16 v6, v29, v23
	v_pack_b32_f16 v7, v8, v21
	ds_write2_b32 v11, v6, v7 offset0:48 offset1:60
	v_pack_b32_f16 v6, v4, v16
	v_pack_b32_f16 v7, v5, v17
	v_add_u32_e32 v8, 0x600, v12
	ds_write2_b32 v11, v6, v7 offset0:72 offset1:84
	s_waitcnt lgkmcnt(0)
	s_barrier
	ds_read2_b32 v[6:7], v12 offset1:144
	ds_read2_b32 v[8:9], v8 offset1:144
	;; [unrolled: 1-line block ×3, first 2 shown]
	s_and_saveexec_b64 s[2:3], vcc
	s_cbranch_execz .LBB0_23
; %bb.22:
	v_add_u32_e32 v4, 0x80, v12
	ds_read2st64_b32 v[4:5], v4 offset0:4 offset1:10
	ds_read_b32 v14, v12 offset:4224
	s_waitcnt lgkmcnt(1)
	v_lshrrev_b32_e32 v16, 16, v4
	v_lshrrev_b32_e32 v17, 16, v5
	s_waitcnt lgkmcnt(0)
	v_lshrrev_b32_e32 v15, 16, v14
.LBB0_23:
	s_or_b64 exec, exec, s[2:3]
	v_add_u32_e32 v18, 0xffffffa0, v0
	v_cndmask_b32_e32 v22, v18, v0, vcc
	s_mov_b32 s6, 0xaaab
	v_lshlrev_b32_e32 v18, 1, v22
	v_mov_b32_e32 v19, 0
	v_mul_u32_u24_sdwa v20, v1, s6 dst_sel:DWORD dst_unused:UNUSED_PAD src0_sel:WORD_0 src1_sel:DWORD
	v_lshlrev_b64 v[18:19], 2, v[18:19]
	v_lshrrev_b32_e32 v24, 22, v20
	v_mul_lo_u16_e32 v20, 0x60, v24
	v_mov_b32_e32 v23, s9
	v_sub_u16_e32 v1, v1, v20
	v_add_co_u32_e64 v18, s[2:3], s8, v18
	v_lshlrev_b32_e32 v20, 3, v1
	v_addc_co_u32_e64 v19, s[2:3], v23, v19, s[2:3]
	global_load_dwordx2 v[20:21], v20, s[8:9] offset:368
	s_movk_i32 s2, 0x5f
	global_load_dwordx2 v[18:19], v[18:19], off offset:368
	v_mov_b32_e32 v30, 0x480
	v_cmp_lt_u32_e64 s[2:3], s2, v0
	s_waitcnt lgkmcnt(1)
	v_lshrrev_b32_e32 v25, 16, v8
	s_waitcnt lgkmcnt(0)
	v_lshrrev_b32_e32 v26, 16, v10
	v_lshrrev_b32_e32 v27, 16, v9
	;; [unrolled: 1-line block ×3, first 2 shown]
	v_cndmask_b32_e64 v30, 0, v30, s[2:3]
	v_lshlrev_b32_e32 v22, 2, v22
	v_mul_u32_u24_e32 v24, 0x480, v24
	v_lshlrev_b32_e32 v1, 2, v1
	v_add3_u32 v22, 0, v30, v22
	v_add3_u32 v1, 0, v24, v1
	v_lshrrev_b32_e32 v23, 16, v7
	v_lshrrev_b32_e32 v29, 16, v6
	s_movk_i32 s4, 0x3aee
	s_mov_b32 s5, 0xbaee
	s_waitcnt vmcnt(0)
	s_barrier
	v_mul_f16_sdwa v24, v20, v27 dst_sel:DWORD dst_unused:UNUSED_PAD src0_sel:WORD_1 src1_sel:DWORD
	v_mul_f16_sdwa v30, v20, v9 dst_sel:DWORD dst_unused:UNUSED_PAD src0_sel:WORD_1 src1_sel:DWORD
	;; [unrolled: 1-line block ×8, first 2 shown]
	v_fma_f16 v27, v20, v27, v30
	v_fma_f16 v28, v21, v28, v32
	v_fma_f16 v9, v20, v9, -v24
	v_fma_f16 v11, v21, v11, -v31
	;; [unrolled: 1-line block ×3, first 2 shown]
	v_fma_f16 v18, v18, v25, v34
	v_fma_f16 v10, v19, v10, -v35
	v_fma_f16 v19, v19, v26, v36
	v_add_f16_e32 v20, v7, v9
	v_add_f16_e32 v21, v9, v11
	;; [unrolled: 1-line block ×5, first 2 shown]
	v_sub_f16_e32 v31, v18, v19
	v_add_f16_e32 v32, v18, v29
	v_add_f16_e32 v18, v18, v19
	v_sub_f16_e32 v24, v27, v28
	v_sub_f16_e32 v9, v9, v11
	v_add_f16_e32 v27, v8, v6
	v_sub_f16_e32 v8, v8, v10
	v_add_f16_e32 v11, v20, v11
	v_fma_f16 v7, v21, -0.5, v7
	v_add_f16_e32 v20, v25, v28
	v_fma_f16 v21, v26, -0.5, v23
	v_fma_f16 v6, v30, -0.5, v6
	;; [unrolled: 1-line block ×3, first 2 shown]
	v_add_f16_e32 v10, v27, v10
	v_add_f16_e32 v19, v32, v19
	v_fma_f16 v23, v24, s4, v7
	v_fma_f16 v7, v24, s5, v7
	;; [unrolled: 1-line block ×4, first 2 shown]
	v_pack_b32_f16 v11, v11, v20
	v_fma_f16 v20, v31, s4, v6
	v_fma_f16 v21, v8, s5, v18
	;; [unrolled: 1-line block ×4, first 2 shown]
	v_pack_b32_f16 v10, v10, v19
	v_pack_b32_f16 v7, v7, v9
	;; [unrolled: 1-line block ×5, first 2 shown]
	ds_write2_b32 v22, v10, v9 offset1:96
	ds_write_b32 v22, v6 offset:768
	ds_write2_b32 v1, v11, v18 offset1:96
	ds_write_b32 v1, v7 offset:768
	s_and_saveexec_b64 s[2:3], vcc
	s_cbranch_execz .LBB0_25
; %bb.24:
	v_mul_u32_u24_sdwa v1, v13, s6 dst_sel:DWORD dst_unused:UNUSED_PAD src0_sel:WORD_0 src1_sel:DWORD
	v_lshrrev_b32_e32 v1, 22, v1
	v_mul_lo_u16_e32 v1, 0x60, v1
	v_sub_u16_e32 v1, v13, v1
	v_lshlrev_b32_e32 v6, 3, v1
	global_load_dwordx2 v[6:7], v6, s[8:9] offset:368
	v_lshl_add_u32 v1, v1, 2, 0
	v_add_u32_e32 v8, 0xc00, v1
	s_waitcnt vmcnt(0)
	v_mul_f16_sdwa v9, v5, v6 dst_sel:DWORD dst_unused:UNUSED_PAD src0_sel:DWORD src1_sel:WORD_1
	v_mul_f16_sdwa v10, v14, v7 dst_sel:DWORD dst_unused:UNUSED_PAD src0_sel:DWORD src1_sel:WORD_1
	;; [unrolled: 1-line block ×4, first 2 shown]
	v_fma_f16 v9, v17, v6, v9
	v_fma_f16 v10, v15, v7, v10
	v_fma_f16 v5, v5, v6, -v11
	v_fma_f16 v6, v14, v7, -v13
	v_add_f16_e32 v7, v9, v10
	v_add_f16_e32 v13, v5, v6
	v_sub_f16_e32 v11, v5, v6
	v_sub_f16_e32 v14, v9, v10
	v_add_f16_e32 v9, v16, v9
	v_add_f16_e32 v5, v4, v5
	v_fma_f16 v7, v7, -0.5, v16
	v_fma_f16 v4, v13, -0.5, v4
	v_add_f16_e32 v9, v9, v10
	v_add_f16_e32 v5, v5, v6
	v_fma_f16 v6, v11, s5, v7
	v_fma_f16 v10, v14, s4, v4
	;; [unrolled: 1-line block ×4, first 2 shown]
	v_pack_b32_f16 v5, v5, v9
	v_pack_b32_f16 v6, v10, v6
	v_pack_b32_f16 v4, v4, v7
	ds_write2_b32 v8, v5, v6 offset0:96 offset1:192
	ds_write_b32 v1, v4 offset:4224
.LBB0_25:
	s_or_b64 exec, exec, s[2:3]
	v_mul_u32_u24_e32 v1, 3, v0
	v_lshlrev_b32_e32 v1, 2, v1
	s_waitcnt lgkmcnt(0)
	s_barrier
	global_load_dwordx3 v[4:6], v1, s[8:9] offset:1136
	global_load_dwordx3 v[7:9], v1, s[8:9] offset:2864
	v_add_u32_e32 v1, 0x400, v12
	v_add_u32_e32 v19, 0x800, v12
	;; [unrolled: 1-line block ×3, first 2 shown]
	ds_read_u16 v21, v12 offset:4034
	ds_read2_b32 v[10:11], v12 offset1:144
	ds_read2_b32 v[13:14], v1 offset0:32 offset1:176
	ds_read2_b32 v[15:16], v19 offset0:64 offset1:208
	ds_read2_b32 v[17:18], v20 offset0:96 offset1:240
	s_waitcnt lgkmcnt(0)
	v_lshrrev_b32_e32 v22, 16, v10
	v_lshrrev_b32_e32 v24, 16, v13
	;; [unrolled: 1-line block ×7, first 2 shown]
	s_waitcnt vmcnt(0)
	s_barrier
	v_mul_f16_sdwa v29, v4, v24 dst_sel:DWORD dst_unused:UNUSED_PAD src0_sel:WORD_1 src1_sel:DWORD
	v_mul_f16_sdwa v30, v4, v13 dst_sel:DWORD dst_unused:UNUSED_PAD src0_sel:WORD_1 src1_sel:DWORD
	;; [unrolled: 1-line block ×8, first 2 shown]
	v_fma_f16 v24, v4, v24, v30
	v_mul_f16_sdwa v30, v8, v28 dst_sel:DWORD dst_unused:UNUSED_PAD src0_sel:WORD_1 src1_sel:DWORD
	v_fma_f16 v25, v5, v25, v32
	v_mul_f16_sdwa v32, v8, v16 dst_sel:DWORD dst_unused:UNUSED_PAD src0_sel:WORD_1 src1_sel:DWORD
	v_fma_f16 v26, v6, v26, v33
	v_mul_f16_sdwa v33, v21, v9 dst_sel:DWORD dst_unused:UNUSED_PAD src0_sel:DWORD src1_sel:WORD_1
	v_fma_f16 v4, v4, v13, -v29
	v_mul_f16_sdwa v13, v9, v18 dst_sel:DWORD dst_unused:UNUSED_PAD src0_sel:WORD_1 src1_sel:DWORD
	v_fma_f16 v5, v5, v15, -v31
	v_fma_f16 v6, v6, v17, -v34
	;; [unrolled: 1-line block ×4, first 2 shown]
	v_fma_f16 v7, v7, v27, v36
	v_fma_f16 v16, v9, v18, -v33
	v_fma_f16 v8, v8, v28, v32
	v_fma_f16 v9, v21, v9, v13
	v_sub_f16_e32 v5, v10, v5
	v_sub_f16_e32 v13, v22, v25
	;; [unrolled: 1-line block ×8, first 2 shown]
	v_fma_f16 v10, v10, 2.0, -v5
	v_fma_f16 v18, v22, 2.0, -v13
	;; [unrolled: 1-line block ×4, first 2 shown]
	v_sub_f16_e32 v17, v5, v17
	v_add_f16_e32 v6, v13, v6
	v_fma_f16 v11, v11, 2.0, -v15
	v_fma_f16 v22, v23, 2.0, -v8
	;; [unrolled: 1-line block ×4, first 2 shown]
	v_sub_f16_e32 v9, v15, v9
	v_add_f16_e32 v16, v8, v16
	v_sub_f16_e32 v4, v10, v4
	v_sub_f16_e32 v21, v18, v21
	v_fma_f16 v5, v5, 2.0, -v17
	v_fma_f16 v13, v13, 2.0, -v6
	v_sub_f16_e32 v14, v11, v14
	v_sub_f16_e32 v7, v22, v7
	v_fma_f16 v15, v15, 2.0, -v9
	v_fma_f16 v8, v8, 2.0, -v16
	v_pack_b32_f16 v6, v17, v6
	v_fma_f16 v10, v10, 2.0, -v4
	v_fma_f16 v17, v18, 2.0, -v21
	;; [unrolled: 1-line block ×4, first 2 shown]
	v_pack_b32_f16 v5, v5, v13
	v_pack_b32_f16 v8, v15, v8
	v_pack_b32_f16 v4, v4, v21
	v_pack_b32_f16 v7, v14, v7
	v_pack_b32_f16 v10, v10, v17
	v_pack_b32_f16 v11, v11, v18
	ds_write2_b32 v1, v5, v8 offset0:32 offset1:176
	ds_write2_b32 v12, v10, v11 offset1:144
	ds_write2_b32 v19, v4, v7 offset0:64 offset1:208
	v_pack_b32_f16 v1, v9, v16
	ds_write2_b32 v20, v6, v1 offset0:96 offset1:240
	s_waitcnt lgkmcnt(0)
	s_barrier
	s_and_saveexec_b64 s[2:3], s[0:1]
	s_cbranch_execz .LBB0_27
; %bb.26:
	v_lshl_add_u32 v6, v0, 2, 0
	v_mov_b32_e32 v1, 0
	ds_read2_b32 v[4:5], v6 offset1:144
	v_mov_b32_e32 v7, s13
	v_add_co_u32_e32 v8, vcc, s12, v2
	v_addc_co_u32_e32 v7, vcc, v7, v3, vcc
	v_lshlrev_b64 v[2:3], 2, v[0:1]
	v_add_co_u32_e32 v2, vcc, v8, v2
	v_addc_co_u32_e32 v3, vcc, v7, v3, vcc
	s_waitcnt lgkmcnt(0)
	global_store_dword v[2:3], v4, off
	v_add_u32_e32 v2, 0x90, v0
	v_mov_b32_e32 v3, v1
	v_lshlrev_b64 v[2:3], 2, v[2:3]
	v_add_u32_e32 v4, 0x400, v6
	v_add_co_u32_e32 v2, vcc, v8, v2
	v_addc_co_u32_e32 v3, vcc, v7, v3, vcc
	global_store_dword v[2:3], v5, off
	v_add_u32_e32 v2, 0x120, v0
	v_mov_b32_e32 v3, v1
	ds_read2_b32 v[4:5], v4 offset0:32 offset1:176
	v_lshlrev_b64 v[2:3], 2, v[2:3]
	v_add_co_u32_e32 v2, vcc, v8, v2
	v_addc_co_u32_e32 v3, vcc, v7, v3, vcc
	s_waitcnt lgkmcnt(0)
	global_store_dword v[2:3], v4, off
	v_add_u32_e32 v2, 0x1b0, v0
	v_mov_b32_e32 v3, v1
	v_lshlrev_b64 v[2:3], 2, v[2:3]
	v_add_u32_e32 v4, 0x800, v6
	v_add_co_u32_e32 v2, vcc, v8, v2
	v_addc_co_u32_e32 v3, vcc, v7, v3, vcc
	global_store_dword v[2:3], v5, off
	v_add_u32_e32 v2, 0x240, v0
	v_mov_b32_e32 v3, v1
	ds_read2_b32 v[4:5], v4 offset0:64 offset1:208
	v_lshlrev_b64 v[2:3], 2, v[2:3]
	v_add_co_u32_e32 v2, vcc, v8, v2
	v_addc_co_u32_e32 v3, vcc, v7, v3, vcc
	s_waitcnt lgkmcnt(0)
	global_store_dword v[2:3], v4, off
	v_add_u32_e32 v2, 0x2d0, v0
	v_mov_b32_e32 v3, v1
	v_lshlrev_b64 v[2:3], 2, v[2:3]
	v_add_u32_e32 v4, 0xc00, v6
	v_add_co_u32_e32 v2, vcc, v8, v2
	v_addc_co_u32_e32 v3, vcc, v7, v3, vcc
	global_store_dword v[2:3], v5, off
	v_add_u32_e32 v2, 0x360, v0
	v_mov_b32_e32 v3, v1
	v_lshlrev_b64 v[2:3], 2, v[2:3]
	ds_read2_b32 v[4:5], v4 offset0:96 offset1:240
	v_add_u32_e32 v0, 0x3f0, v0
	v_add_co_u32_e32 v2, vcc, v8, v2
	v_lshlrev_b64 v[0:1], 2, v[0:1]
	v_addc_co_u32_e32 v3, vcc, v7, v3, vcc
	v_add_co_u32_e32 v0, vcc, v8, v0
	v_addc_co_u32_e32 v1, vcc, v7, v1, vcc
	s_waitcnt lgkmcnt(0)
	global_store_dword v[2:3], v4, off
	global_store_dword v[0:1], v5, off
.LBB0_27:
	s_endpgm
	.section	.rodata,"a",@progbits
	.p2align	6, 0x0
	.amdhsa_kernel fft_rtc_fwd_len1152_factors_4_3_8_3_4_wgs_144_tpt_144_halfLds_half_ip_CI_unitstride_sbrr_C2R_dirReg
		.amdhsa_group_segment_fixed_size 0
		.amdhsa_private_segment_fixed_size 0
		.amdhsa_kernarg_size 88
		.amdhsa_user_sgpr_count 6
		.amdhsa_user_sgpr_private_segment_buffer 1
		.amdhsa_user_sgpr_dispatch_ptr 0
		.amdhsa_user_sgpr_queue_ptr 0
		.amdhsa_user_sgpr_kernarg_segment_ptr 1
		.amdhsa_user_sgpr_dispatch_id 0
		.amdhsa_user_sgpr_flat_scratch_init 0
		.amdhsa_user_sgpr_private_segment_size 0
		.amdhsa_uses_dynamic_stack 0
		.amdhsa_system_sgpr_private_segment_wavefront_offset 0
		.amdhsa_system_sgpr_workgroup_id_x 1
		.amdhsa_system_sgpr_workgroup_id_y 0
		.amdhsa_system_sgpr_workgroup_id_z 0
		.amdhsa_system_sgpr_workgroup_info 0
		.amdhsa_system_vgpr_workitem_id 0
		.amdhsa_next_free_vgpr 37
		.amdhsa_next_free_sgpr 22
		.amdhsa_reserve_vcc 1
		.amdhsa_reserve_flat_scratch 0
		.amdhsa_float_round_mode_32 0
		.amdhsa_float_round_mode_16_64 0
		.amdhsa_float_denorm_mode_32 3
		.amdhsa_float_denorm_mode_16_64 3
		.amdhsa_dx10_clamp 1
		.amdhsa_ieee_mode 1
		.amdhsa_fp16_overflow 0
		.amdhsa_exception_fp_ieee_invalid_op 0
		.amdhsa_exception_fp_denorm_src 0
		.amdhsa_exception_fp_ieee_div_zero 0
		.amdhsa_exception_fp_ieee_overflow 0
		.amdhsa_exception_fp_ieee_underflow 0
		.amdhsa_exception_fp_ieee_inexact 0
		.amdhsa_exception_int_div_zero 0
	.end_amdhsa_kernel
	.text
.Lfunc_end0:
	.size	fft_rtc_fwd_len1152_factors_4_3_8_3_4_wgs_144_tpt_144_halfLds_half_ip_CI_unitstride_sbrr_C2R_dirReg, .Lfunc_end0-fft_rtc_fwd_len1152_factors_4_3_8_3_4_wgs_144_tpt_144_halfLds_half_ip_CI_unitstride_sbrr_C2R_dirReg
                                        ; -- End function
	.section	.AMDGPU.csdata,"",@progbits
; Kernel info:
; codeLenInByte = 6172
; NumSgprs: 26
; NumVgprs: 37
; ScratchSize: 0
; MemoryBound: 0
; FloatMode: 240
; IeeeMode: 1
; LDSByteSize: 0 bytes/workgroup (compile time only)
; SGPRBlocks: 3
; VGPRBlocks: 9
; NumSGPRsForWavesPerEU: 26
; NumVGPRsForWavesPerEU: 37
; Occupancy: 6
; WaveLimiterHint : 1
; COMPUTE_PGM_RSRC2:SCRATCH_EN: 0
; COMPUTE_PGM_RSRC2:USER_SGPR: 6
; COMPUTE_PGM_RSRC2:TRAP_HANDLER: 0
; COMPUTE_PGM_RSRC2:TGID_X_EN: 1
; COMPUTE_PGM_RSRC2:TGID_Y_EN: 0
; COMPUTE_PGM_RSRC2:TGID_Z_EN: 0
; COMPUTE_PGM_RSRC2:TIDIG_COMP_CNT: 0
	.type	__hip_cuid_1ad8111eb4c28054,@object ; @__hip_cuid_1ad8111eb4c28054
	.section	.bss,"aw",@nobits
	.globl	__hip_cuid_1ad8111eb4c28054
__hip_cuid_1ad8111eb4c28054:
	.byte	0                               ; 0x0
	.size	__hip_cuid_1ad8111eb4c28054, 1

	.ident	"AMD clang version 19.0.0git (https://github.com/RadeonOpenCompute/llvm-project roc-6.4.0 25133 c7fe45cf4b819c5991fe208aaa96edf142730f1d)"
	.section	".note.GNU-stack","",@progbits
	.addrsig
	.addrsig_sym __hip_cuid_1ad8111eb4c28054
	.amdgpu_metadata
---
amdhsa.kernels:
  - .args:
      - .actual_access:  read_only
        .address_space:  global
        .offset:         0
        .size:           8
        .value_kind:     global_buffer
      - .offset:         8
        .size:           8
        .value_kind:     by_value
      - .actual_access:  read_only
        .address_space:  global
        .offset:         16
        .size:           8
        .value_kind:     global_buffer
      - .actual_access:  read_only
        .address_space:  global
        .offset:         24
        .size:           8
        .value_kind:     global_buffer
      - .offset:         32
        .size:           8
        .value_kind:     by_value
      - .actual_access:  read_only
        .address_space:  global
        .offset:         40
        .size:           8
        .value_kind:     global_buffer
      - .actual_access:  read_only
        .address_space:  global
        .offset:         48
        .size:           8
        .value_kind:     global_buffer
      - .offset:         56
        .size:           4
        .value_kind:     by_value
      - .actual_access:  read_only
        .address_space:  global
        .offset:         64
        .size:           8
        .value_kind:     global_buffer
      - .actual_access:  read_only
        .address_space:  global
        .offset:         72
        .size:           8
        .value_kind:     global_buffer
      - .address_space:  global
        .offset:         80
        .size:           8
        .value_kind:     global_buffer
    .group_segment_fixed_size: 0
    .kernarg_segment_align: 8
    .kernarg_segment_size: 88
    .language:       OpenCL C
    .language_version:
      - 2
      - 0
    .max_flat_workgroup_size: 144
    .name:           fft_rtc_fwd_len1152_factors_4_3_8_3_4_wgs_144_tpt_144_halfLds_half_ip_CI_unitstride_sbrr_C2R_dirReg
    .private_segment_fixed_size: 0
    .sgpr_count:     26
    .sgpr_spill_count: 0
    .symbol:         fft_rtc_fwd_len1152_factors_4_3_8_3_4_wgs_144_tpt_144_halfLds_half_ip_CI_unitstride_sbrr_C2R_dirReg.kd
    .uniform_work_group_size: 1
    .uses_dynamic_stack: false
    .vgpr_count:     37
    .vgpr_spill_count: 0
    .wavefront_size: 64
amdhsa.target:   amdgcn-amd-amdhsa--gfx906
amdhsa.version:
  - 1
  - 2
...

	.end_amdgpu_metadata
